;; amdgpu-corpus repo=ROCm/rocFFT kind=compiled arch=gfx906 opt=O3
	.text
	.amdgcn_target "amdgcn-amd-amdhsa--gfx906"
	.amdhsa_code_object_version 6
	.protected	fft_rtc_fwd_len84_factors_6_2_7_wgs_252_tpt_7_halfLds_dim2_sp_ip_CI_sbcc_twdbase8_3step_dirReg ; -- Begin function fft_rtc_fwd_len84_factors_6_2_7_wgs_252_tpt_7_halfLds_dim2_sp_ip_CI_sbcc_twdbase8_3step_dirReg
	.globl	fft_rtc_fwd_len84_factors_6_2_7_wgs_252_tpt_7_halfLds_dim2_sp_ip_CI_sbcc_twdbase8_3step_dirReg
	.p2align	8
	.type	fft_rtc_fwd_len84_factors_6_2_7_wgs_252_tpt_7_halfLds_dim2_sp_ip_CI_sbcc_twdbase8_3step_dirReg,@function
fft_rtc_fwd_len84_factors_6_2_7_wgs_252_tpt_7_halfLds_dim2_sp_ip_CI_sbcc_twdbase8_3step_dirReg: ; @fft_rtc_fwd_len84_factors_6_2_7_wgs_252_tpt_7_halfLds_dim2_sp_ip_CI_sbcc_twdbase8_3step_dirReg
; %bb.0:
	s_load_dwordx4 s[0:3], s[4:5], 0x10
	s_mov_b32 s7, 0
	s_mov_b64 s[20:21], -1
	s_waitcnt lgkmcnt(0)
	s_load_dwordx2 s[16:17], s[0:1], 0x8
	s_load_dwordx2 s[14:15], s[4:5], 0x50
	;; [unrolled: 1-line block ×3, first 2 shown]
	s_waitcnt lgkmcnt(0)
	s_add_u32 s0, s16, -1
	s_addc_u32 s1, s17, -1
	s_add_u32 s8, 0, 0x1c713f00
	s_addc_u32 s9, 0, 31
	s_add_i32 s9, s9, 0x71c71a8
	s_mul_hi_u32 s19, s8, 0xffffffdc
	s_sub_i32 s19, s19, s8
	s_mul_i32 s22, s9, 0xffffffdc
	s_mul_i32 s10, s8, 0xffffffdc
	s_add_i32 s19, s19, s22
	s_mul_hi_u32 s11, s9, s10
	s_mul_i32 s18, s9, s10
	s_mul_i32 s23, s8, s19
	s_mul_hi_u32 s10, s8, s10
	s_mul_hi_u32 s22, s8, s19
	s_add_u32 s10, s10, s23
	s_addc_u32 s22, 0, s22
	s_add_u32 s10, s10, s18
	s_mul_hi_u32 s23, s9, s19
	s_addc_u32 s10, s22, s11
	s_addc_u32 s11, s23, 0
	s_mul_i32 s18, s9, s19
	s_add_u32 s10, s10, s18
	v_mov_b32_e32 v1, s10
	s_addc_u32 s11, 0, s11
	v_add_co_u32_e32 v1, vcc, s8, v1
	s_cmp_lg_u64 vcc, 0
	s_addc_u32 s8, s9, s11
	v_readfirstlane_b32 s11, v1
	s_mul_i32 s10, s0, s8
	s_mul_hi_u32 s18, s0, s11
	s_mul_hi_u32 s9, s0, s8
	s_add_u32 s10, s18, s10
	s_addc_u32 s9, 0, s9
	s_mul_hi_u32 s19, s1, s11
	s_mul_i32 s11, s1, s11
	s_add_u32 s10, s10, s11
	s_mul_hi_u32 s18, s1, s8
	s_addc_u32 s9, s9, s19
	s_addc_u32 s10, s18, 0
	s_mul_i32 s8, s1, s8
	s_add_u32 s8, s9, s8
	s_addc_u32 s9, 0, s10
	s_add_u32 s10, s8, 1
	s_addc_u32 s11, s9, 0
	s_add_u32 s18, s8, 2
	s_mul_i32 s22, s9, 36
	s_mul_hi_u32 s23, s8, 36
	s_addc_u32 s19, s9, 0
	s_add_i32 s23, s23, s22
	s_mul_i32 s22, s8, 36
	v_mov_b32_e32 v1, s22
	v_sub_co_u32_e32 v1, vcc, s0, v1
	s_cmp_lg_u64 vcc, 0
	s_subb_u32 s0, s1, s23
	v_subrev_co_u32_e32 v2, vcc, 36, v1
	s_cmp_lg_u64 vcc, 0
	s_subb_u32 s1, s0, 0
	v_readfirstlane_b32 s22, v2
	s_cmp_gt_u32 s22, 35
	s_cselect_b32 s22, -1, 0
	s_cmp_eq_u32 s1, 0
	s_cselect_b32 s1, s22, -1
	s_cmp_lg_u32 s1, 0
	s_cselect_b32 s1, s18, s10
	s_cselect_b32 s10, s19, s11
	v_readfirstlane_b32 s11, v1
	s_cmp_gt_u32 s11, 35
	s_cselect_b32 s11, -1, 0
	s_cmp_eq_u32 s0, 0
	s_cselect_b32 s0, s11, -1
	s_cmp_lg_u32 s0, 0
	s_cselect_b32 s0, s1, s8
	s_cselect_b32 s9, s10, s9
	s_add_u32 s0, s0, 1
	s_addc_u32 s1, s9, 0
	v_mov_b32_e32 v2, s1
	v_mov_b32_e32 v1, s0
	v_cmp_lt_u64_e32 vcc, s[6:7], v[1:2]
	s_mov_b64 s[22:23], 0
	s_cbranch_vccnz .LBB0_2
; %bb.1:
	v_cvt_f32_u32_e32 v1, s0
	s_sub_i32 s7, 0, s0
	v_rcp_iflag_f32_e32 v1, v1
	v_mul_f32_e32 v1, 0x4f7ffffe, v1
	v_cvt_u32_f32_e32 v1, v1
	v_readfirstlane_b32 s8, v1
	s_mul_i32 s7, s7, s8
	s_mul_hi_u32 s7, s8, s7
	s_add_i32 s8, s8, s7
	s_mul_hi_u32 s7, s6, s8
	s_mul_i32 s9, s7, s0
	s_sub_i32 s9, s6, s9
	s_add_i32 s8, s7, 1
	s_sub_i32 s10, s9, s0
	s_cmp_ge_u32 s9, s0
	s_cselect_b32 s7, s8, s7
	s_cselect_b32 s9, s10, s9
	s_add_i32 s8, s7, 1
	s_cmp_ge_u32 s9, s0
	s_cselect_b32 s22, s8, s7
.LBB0_2:
	s_mul_i32 s1, s22, s1
	s_mul_hi_u32 s7, s22, s0
	s_load_dwordx4 s[8:11], s[2:3], 0x8
	s_add_i32 s7, s7, s1
	s_mul_i32 s0, s22, s0
	s_sub_u32 s0, s6, s0
	s_subb_u32 s1, 0, s7
	s_mul_i32 s1, s1, 36
	s_mul_hi_u32 s2, s0, 36
	s_mul_i32 s0, s0, 36
	s_add_i32 s1, s2, s1
	s_waitcnt lgkmcnt(0)
	s_mul_i32 s3, s0, s9
	s_mul_hi_u32 s6, s0, s8
	v_mul_u32_u24_e32 v1, 0x71d, v0
	s_mul_i32 s2, s1, s8
	s_add_i32 s3, s6, s3
	s_mul_i32 s6, s11, s22
	s_mul_hi_u32 s7, s10, s22
	v_lshrrev_b32_e32 v72, 16, v1
	s_add_i32 s3, s3, s2
	s_mul_i32 s2, s0, s8
	s_add_i32 s7, s7, s6
	s_mul_i32 s6, s10, s22
	v_mul_lo_u16_e32 v1, 36, v72
	s_add_u32 s6, s6, s2
	v_sub_u16_e32 v73, v0, v1
	s_addc_u32 s7, s7, s3
	v_mov_b32_e32 v1, s1
	v_add_co_u32_e32 v12, vcc, s0, v73
	s_load_dwordx2 s[18:19], s[4:5], 0x0
	v_addc_co_u32_e32 v13, vcc, 0, v1, vcc
	s_add_u32 s0, s0, 36
	v_mov_b32_e32 v1, s16
	s_addc_u32 s1, s1, 0
	v_mov_b32_e32 v2, s17
	v_cmp_gt_u64_e32 vcc, s[0:1], v[1:2]
	v_cmp_le_u64_e64 s[0:1], s[0:1], v[1:2]
	s_and_b64 vcc, exec, vcc
	v_add_u32_e32 v29, 14, v72
	v_add_u32_e32 v30, 28, v72
	;; [unrolled: 1-line block ×5, first 2 shown]
	s_cbranch_vccnz .LBB0_4
; %bb.3:
	v_mad_u64_u32 v[1:2], s[2:3], s8, v73, 0
	v_mad_u64_u32 v[3:4], s[2:3], s12, v72, 0
	v_add_u32_e32 v28, 14, v72
	v_add_u32_e32 v11, 28, v72
	v_mad_u64_u32 v[5:6], s[2:3], s9, v73, v[2:3]
	v_mov_b32_e32 v2, v4
	v_mad_u64_u32 v[6:7], s[2:3], s13, v72, v[2:3]
	s_lshl_b64 s[2:3], s[6:7], 3
	s_add_u32 s10, s14, s2
	s_addc_u32 s2, s15, s3
	v_mov_b32_e32 v2, v5
	v_mov_b32_e32 v4, v6
	;; [unrolled: 1-line block ×3, first 2 shown]
	v_mad_u64_u32 v[5:6], s[2:3], s12, v28, 0
	v_lshlrev_b64 v[1:2], 3, v[1:2]
	v_add_u32_e32 v74, 7, v72
	v_add_co_u32_e32 v9, vcc, s10, v1
	v_addc_co_u32_e32 v10, vcc, v7, v2, vcc
	v_lshlrev_b64 v[1:2], 3, v[3:4]
	v_mov_b32_e32 v3, v6
	v_mad_u64_u32 v[3:4], s[2:3], s13, v28, v[3:4]
	v_mad_u64_u32 v[7:8], s[2:3], s12, v11, 0
	v_add_co_u32_e32 v36, vcc, v9, v1
	v_mov_b32_e32 v6, v3
	v_mov_b32_e32 v3, v8
	v_addc_co_u32_e32 v37, vcc, v10, v2, vcc
	v_lshlrev_b64 v[1:2], 3, v[5:6]
	v_mad_u64_u32 v[3:4], s[2:3], s13, v11, v[3:4]
	v_add_u32_e32 v6, 42, v72
	v_mad_u64_u32 v[4:5], s[2:3], s12, v6, 0
	v_add_co_u32_e32 v38, vcc, v9, v1
	v_mov_b32_e32 v8, v3
	v_mov_b32_e32 v3, v5
	v_addc_co_u32_e32 v39, vcc, v10, v2, vcc
	v_lshlrev_b64 v[1:2], 3, v[7:8]
	v_mad_u64_u32 v[5:6], s[2:3], s13, v6, v[3:4]
	v_or_b32_e32 v8, 56, v72
	v_mad_u64_u32 v[6:7], s[2:3], s12, v8, 0
	v_add_co_u32_e32 v40, vcc, v9, v1
	v_mov_b32_e32 v3, v7
	v_addc_co_u32_e32 v41, vcc, v10, v2, vcc
	v_lshlrev_b64 v[1:2], 3, v[4:5]
	v_mad_u64_u32 v[3:4], s[2:3], s13, v8, v[3:4]
	v_add_u32_e32 v8, 0x46, v72
	v_mad_u64_u32 v[4:5], s[2:3], s12, v8, 0
	v_add_co_u32_e32 v42, vcc, v9, v1
	v_mov_b32_e32 v7, v3
	v_mov_b32_e32 v3, v5
	v_addc_co_u32_e32 v43, vcc, v10, v2, vcc
	v_lshlrev_b64 v[1:2], 3, v[6:7]
	v_mad_u64_u32 v[5:6], s[2:3], s13, v8, v[3:4]
	v_mad_u64_u32 v[6:7], s[2:3], s12, v74, 0
	v_add_co_u32_e32 v44, vcc, v9, v1
	v_mov_b32_e32 v3, v7
	v_addc_co_u32_e32 v45, vcc, v10, v2, vcc
	v_lshlrev_b64 v[1:2], 3, v[4:5]
	v_mad_u64_u32 v[3:4], s[2:3], s13, v74, v[3:4]
	v_add_u32_e32 v35, 21, v72
	v_mad_u64_u32 v[4:5], s[2:3], s12, v35, 0
	v_add_co_u32_e32 v46, vcc, v9, v1
	v_mov_b32_e32 v7, v3
	v_mov_b32_e32 v3, v5
	v_addc_co_u32_e32 v47, vcc, v10, v2, vcc
	v_lshlrev_b64 v[1:2], 3, v[6:7]
	v_mad_u64_u32 v[5:6], s[2:3], s13, v35, v[3:4]
	v_add_u32_e32 v34, 35, v72
	v_mad_u64_u32 v[6:7], s[2:3], s12, v34, 0
	v_add_co_u32_e32 v48, vcc, v9, v1
	v_mov_b32_e32 v3, v7
	v_addc_co_u32_e32 v49, vcc, v10, v2, vcc
	v_lshlrev_b64 v[1:2], 3, v[4:5]
	v_mad_u64_u32 v[3:4], s[2:3], s13, v34, v[3:4]
	v_add_u32_e32 v8, 49, v72
	v_mad_u64_u32 v[4:5], s[2:3], s12, v8, 0
	v_add_co_u32_e32 v50, vcc, v9, v1
	v_mov_b32_e32 v7, v3
	v_mov_b32_e32 v3, v5
	v_addc_co_u32_e32 v51, vcc, v10, v2, vcc
	v_lshlrev_b64 v[1:2], 3, v[6:7]
	v_mad_u64_u32 v[5:6], s[2:3], s13, v8, v[3:4]
	v_add_u32_e32 v8, 63, v72
	v_mad_u64_u32 v[6:7], s[2:3], s12, v8, 0
	v_add_co_u32_e32 v52, vcc, v9, v1
	v_mov_b32_e32 v3, v7
	v_addc_co_u32_e32 v53, vcc, v10, v2, vcc
	v_lshlrev_b64 v[1:2], 3, v[4:5]
	v_mad_u64_u32 v[3:4], s[2:3], s13, v8, v[3:4]
	v_add_u32_e32 v8, 0x4d, v72
	v_mad_u64_u32 v[4:5], s[2:3], s12, v8, 0
	v_add_co_u32_e32 v54, vcc, v9, v1
	v_mov_b32_e32 v7, v3
	v_mov_b32_e32 v3, v5
	v_addc_co_u32_e32 v55, vcc, v10, v2, vcc
	v_lshlrev_b64 v[1:2], 3, v[6:7]
	v_mad_u64_u32 v[5:6], s[2:3], s13, v8, v[3:4]
	v_add_co_u32_e32 v56, vcc, v9, v1
	v_addc_co_u32_e32 v57, vcc, v10, v2, vcc
	v_lshlrev_b64 v[1:2], 3, v[4:5]
	v_add_co_u32_e32 v58, vcc, v9, v1
	v_addc_co_u32_e32 v59, vcc, v10, v2, vcc
	global_load_dwordx2 v[5:6], v[36:37], off
	global_load_dwordx2 v[9:10], v[38:39], off
	;; [unrolled: 1-line block ×12, first 2 shown]
	s_cbranch_execz .LBB0_5
	s_branch .LBB0_10
.LBB0_4:
                                        ; implicit-def: $vgpr1
                                        ; implicit-def: $vgpr16
                                        ; implicit-def: $vgpr20
                                        ; implicit-def: $vgpr22
                                        ; implicit-def: $vgpr18
                                        ; implicit-def: $vgpr24
                                        ; implicit-def: $vgpr7
                                        ; implicit-def: $vgpr3
                                        ; implicit-def: $vgpr74
                                        ; implicit-def: $vgpr28
                                        ; implicit-def: $vgpr35
                                        ; implicit-def: $vgpr11
                                        ; implicit-def: $vgpr34
                                        ; implicit-def: $vgpr26
                                        ; implicit-def: $vgpr14
                                        ; implicit-def: $vgpr9
                                        ; implicit-def: $vgpr5
	s_andn2_b64 vcc, exec, s[20:21]
	s_cbranch_vccnz .LBB0_10
.LBB0_5:
	v_cmp_le_u64_e32 vcc, s[16:17], v[12:13]
                                        ; implicit-def: $vgpr74
                                        ; implicit-def: $vgpr28
                                        ; implicit-def: $vgpr35
                                        ; implicit-def: $vgpr11
                                        ; implicit-def: $vgpr34
	s_and_saveexec_b64 s[2:3], vcc
	s_xor_b64 s[2:3], exec, s[2:3]
; %bb.6:
	v_add_u32_e32 v74, 7, v72
	v_add_u32_e32 v28, 14, v72
	;; [unrolled: 1-line block ×5, first 2 shown]
                                        ; implicit-def: $vgpr29
                                        ; implicit-def: $vgpr30
                                        ; implicit-def: $vgpr31
                                        ; implicit-def: $vgpr32
                                        ; implicit-def: $vgpr33
; %bb.7:
	s_or_saveexec_b64 s[2:3], s[2:3]
                                        ; implicit-def: $vgpr1
                                        ; implicit-def: $vgpr16
                                        ; implicit-def: $vgpr20
                                        ; implicit-def: $vgpr22
                                        ; implicit-def: $vgpr18
                                        ; implicit-def: $vgpr24
                                        ; implicit-def: $vgpr7
                                        ; implicit-def: $vgpr3
                                        ; implicit-def: $vgpr26
                                        ; implicit-def: $vgpr14
                                        ; implicit-def: $vgpr9
                                        ; implicit-def: $vgpr5
	s_xor_b64 exec, exec, s[2:3]
	s_cbranch_execz .LBB0_9
; %bb.8:
	s_waitcnt vmcnt(8)
	v_mad_u64_u32 v[1:2], s[10:11], s8, v73, 0
	s_waitcnt vmcnt(5)
	v_mad_u64_u32 v[3:4], s[10:11], s12, v72, 0
	v_add_u32_e32 v11, 0x46, v72
	v_add_u32_e32 v39, 49, v72
	v_mad_u64_u32 v[5:6], s[10:11], s9, v73, v[2:3]
	v_mov_b32_e32 v2, v4
	s_waitcnt vmcnt(4)
	v_mad_u64_u32 v[6:7], s[10:11], s13, v72, v[2:3]
	s_lshl_b64 s[10:11], s[6:7], 3
	s_add_u32 s20, s14, s10
	s_addc_u32 s10, s15, s11
	v_mov_b32_e32 v2, v5
	v_mov_b32_e32 v4, v6
	;; [unrolled: 1-line block ×3, first 2 shown]
	v_mad_u64_u32 v[5:6], s[10:11], s12, v29, 0
	v_lshlrev_b64 v[1:2], 3, v[1:2]
	s_waitcnt vmcnt(1)
	v_mad_u64_u32 v[22:23], s[10:11], s12, v11, 0
	v_add_co_u32_e32 v28, vcc, s20, v1
	v_addc_co_u32_e32 v41, vcc, v7, v2, vcc
	v_lshlrev_b64 v[1:2], 3, v[3:4]
	v_mov_b32_e32 v3, v6
	v_mad_u64_u32 v[3:4], s[10:11], s13, v29, v[3:4]
	v_mad_u64_u32 v[7:8], s[10:11], s12, v30, 0
	v_add_co_u32_e32 v16, vcc, v28, v1
	v_mov_b32_e32 v6, v3
	v_mov_b32_e32 v3, v8
	v_addc_co_u32_e32 v17, vcc, v41, v2, vcc
	v_lshlrev_b64 v[1:2], 3, v[5:6]
	v_mad_u64_u32 v[3:4], s[10:11], s13, v30, v[3:4]
	v_add_u32_e32 v6, 42, v72
	v_mad_u64_u32 v[4:5], s[10:11], s12, v6, 0
	v_mov_b32_e32 v8, v3
	v_add_co_u32_e32 v18, vcc, v28, v1
	v_mov_b32_e32 v3, v5
	v_mad_u64_u32 v[5:6], s[10:11], s13, v6, v[3:4]
	v_addc_co_u32_e32 v19, vcc, v41, v2, vcc
	v_lshlrev_b64 v[1:2], 3, v[7:8]
	v_mov_b32_e32 v74, v31
	v_add_co_u32_e32 v7, vcc, v28, v1
	v_addc_co_u32_e32 v8, vcc, v41, v2, vcc
	v_lshlrev_b64 v[1:2], 3, v[4:5]
	v_or_b32_e32 v5, 56, v72
	v_mad_u64_u32 v[3:4], s[10:11], s12, v5, 0
	s_waitcnt vmcnt(0)
	v_add_co_u32_e32 v20, vcc, v28, v1
	v_mov_b32_e32 v1, v4
	v_mad_u64_u32 v[4:5], s[10:11], s13, v5, v[1:2]
	v_addc_co_u32_e32 v21, vcc, v41, v2, vcc
	global_load_dwordx2 v[5:6], v[16:17], off
	global_load_dwordx2 v[9:10], v[18:19], off
	;; [unrolled: 1-line block ×4, first 2 shown]
	v_mov_b32_e32 v7, v23
	v_mad_u64_u32 v[7:8], s[10:11], s13, v11, v[7:8]
	v_mad_u64_u32 v[16:17], s[10:11], s12, v31, 0
	v_mov_b32_e32 v23, v7
	v_mad_u64_u32 v[20:21], s[10:11], s12, v32, 0
	v_mov_b32_e32 v7, v17
	v_mad_u64_u32 v[7:8], s[10:11], s13, v31, v[7:8]
	v_lshlrev_b64 v[3:4], 3, v[3:4]
	v_add_co_u32_e32 v18, vcc, v28, v3
	v_addc_co_u32_e32 v19, vcc, v41, v4, vcc
	v_lshlrev_b64 v[3:4], 3, v[22:23]
	v_mov_b32_e32 v17, v7
	v_mov_b32_e32 v7, v21
	v_mad_u64_u32 v[7:8], s[10:11], s13, v32, v[7:8]
	v_add_co_u32_e32 v22, vcc, v28, v3
	v_addc_co_u32_e32 v23, vcc, v41, v4, vcc
	v_lshlrev_b64 v[3:4], 3, v[16:17]
	v_mov_b32_e32 v21, v7
	v_add_co_u32_e32 v24, vcc, v28, v3
	v_addc_co_u32_e32 v25, vcc, v41, v4, vcc
	v_lshlrev_b64 v[3:4], 3, v[20:21]
	v_mad_u64_u32 v[20:21], s[10:11], s12, v33, 0
	v_add_co_u32_e32 v34, vcc, v28, v3
	v_mov_b32_e32 v3, v21
	v_mad_u64_u32 v[36:37], s[10:11], s13, v33, v[3:4]
	v_mad_u64_u32 v[37:38], s[10:11], s12, v39, 0
	v_mov_b32_e32 v21, v36
	v_addc_co_u32_e32 v35, vcc, v41, v4, vcc
	v_mov_b32_e32 v11, v38
	global_load_dwordx2 v[26:27], v[18:19], off
	global_load_dwordx2 v[16:17], v[22:23], off
	;; [unrolled: 1-line block ×4, first 2 shown]
	v_lshlrev_b64 v[18:19], 3, v[20:21]
	v_mad_u64_u32 v[20:21], s[10:11], s13, v39, v[11:12]
	v_add_u32_e32 v23, 63, v72
	v_mad_u64_u32 v[21:22], s[10:11], s12, v23, 0
	v_mov_b32_e32 v38, v20
	v_add_u32_e32 v20, 0x4d, v72
	v_mov_b32_e32 v11, v22
	v_mad_u64_u32 v[22:23], s[10:11], s13, v23, v[11:12]
	v_mad_u64_u32 v[23:24], s[10:11], s12, v20, 0
	v_add_co_u32_e32 v34, vcc, v28, v18
	v_addc_co_u32_e32 v35, vcc, v41, v19, vcc
	v_lshlrev_b64 v[18:19], 3, v[37:38]
	v_mov_b32_e32 v11, v24
	v_add_co_u32_e32 v36, vcc, v28, v18
	v_addc_co_u32_e32 v37, vcc, v41, v19, vcc
	v_lshlrev_b64 v[18:19], 3, v[21:22]
	v_mad_u64_u32 v[20:21], s[10:11], s13, v20, v[11:12]
	v_add_co_u32_e32 v38, vcc, v28, v18
	v_mov_b32_e32 v24, v20
	v_addc_co_u32_e32 v39, vcc, v41, v19, vcc
	v_lshlrev_b64 v[18:19], 3, v[23:24]
	v_mov_b32_e32 v11, v30
	v_add_co_u32_e32 v40, vcc, v28, v18
	v_addc_co_u32_e32 v41, vcc, v41, v19, vcc
	global_load_dwordx2 v[24:25], v[34:35], off
	global_load_dwordx2 v[18:19], v[36:37], off
	;; [unrolled: 1-line block ×4, first 2 shown]
	v_mov_b32_e32 v28, v29
	v_mov_b32_e32 v35, v32
	;; [unrolled: 1-line block ×3, first 2 shown]
.LBB0_9:
	s_or_b64 exec, exec, s[2:3]
.LBB0_10:
	s_waitcnt vmcnt(7)
	v_add_f32_e32 v30, v14, v26
	v_add_f32_e32 v29, v5, v14
	v_fmac_f32_e32 v5, -0.5, v30
	v_sub_f32_e32 v30, v15, v27
	v_mov_b32_e32 v31, v5
	v_fmac_f32_e32 v31, 0x3f5db3d7, v30
	v_fmac_f32_e32 v5, 0xbf5db3d7, v30
	v_add_f32_e32 v30, v6, v15
	v_add_f32_e32 v15, v15, v27
	v_fmac_f32_e32 v6, -0.5, v15
	v_add_f32_e32 v29, v29, v26
	v_sub_f32_e32 v14, v14, v26
	v_mov_b32_e32 v15, v6
	s_waitcnt vmcnt(6)
	v_add_f32_e32 v26, v16, v1
	v_fmac_f32_e32 v15, 0xbf5db3d7, v14
	v_fmac_f32_e32 v6, 0x3f5db3d7, v14
	v_add_f32_e32 v14, v9, v1
	v_fmac_f32_e32 v9, -0.5, v26
	v_add_f32_e32 v30, v30, v27
	v_sub_f32_e32 v26, v2, v17
	v_mov_b32_e32 v27, v9
	v_fmac_f32_e32 v27, 0x3f5db3d7, v26
	v_fmac_f32_e32 v9, 0xbf5db3d7, v26
	v_add_f32_e32 v26, v10, v2
	v_add_f32_e32 v2, v17, v2
	v_fmac_f32_e32 v10, -0.5, v2
	v_sub_f32_e32 v1, v1, v16
	v_mov_b32_e32 v2, v10
	v_add_f32_e32 v14, v16, v14
	v_fmac_f32_e32 v2, 0xbf5db3d7, v1
	v_fmac_f32_e32 v10, 0x3f5db3d7, v1
	v_mul_f32_e32 v16, 0.5, v27
	v_mul_f32_e32 v27, 0xbf5db3d7, v27
	v_fmac_f32_e32 v16, 0x3f5db3d7, v2
	v_fmac_f32_e32 v27, 0.5, v2
	v_mul_f32_e32 v2, -0.5, v10
	v_add_f32_e32 v26, v17, v26
	v_mul_f32_e32 v32, -0.5, v9
	v_fmac_f32_e32 v2, 0xbf5db3d7, v9
	v_add_f32_e32 v1, v29, v14
	v_add_f32_e32 v17, v31, v16
	v_fmac_f32_e32 v32, 0x3f5db3d7, v10
	v_add_f32_e32 v38, v30, v26
	v_add_f32_e32 v9, v6, v2
	v_sub_f32_e32 v10, v29, v14
	v_sub_f32_e32 v14, v31, v16
	;; [unrolled: 1-line block ×4, first 2 shown]
	s_waitcnt vmcnt(1)
	v_add_f32_e32 v6, v24, v22
	v_add_f32_e32 v2, v3, v24
	v_fmac_f32_e32 v3, -0.5, v6
	v_add_f32_e32 v39, v15, v27
	v_sub_f32_e32 v15, v15, v27
	v_sub_f32_e32 v6, v25, v23
	v_mov_b32_e32 v27, v3
	v_fmac_f32_e32 v27, 0x3f5db3d7, v6
	v_fmac_f32_e32 v3, 0xbf5db3d7, v6
	v_add_f32_e32 v6, v4, v25
	v_add_f32_e32 v6, v6, v23
	;; [unrolled: 1-line block ×3, first 2 shown]
	v_fmac_f32_e32 v4, -0.5, v23
	v_add_f32_e32 v2, v2, v22
	v_sub_f32_e32 v22, v24, v22
	v_mov_b32_e32 v23, v4
	s_waitcnt vmcnt(0)
	v_add_f32_e32 v24, v18, v20
	v_fmac_f32_e32 v23, 0xbf5db3d7, v22
	v_fmac_f32_e32 v4, 0x3f5db3d7, v22
	v_add_f32_e32 v22, v7, v18
	v_fmac_f32_e32 v7, -0.5, v24
	v_sub_f32_e32 v24, v19, v21
	v_mov_b32_e32 v25, v7
	v_fmac_f32_e32 v25, 0x3f5db3d7, v24
	v_fmac_f32_e32 v7, 0xbf5db3d7, v24
	v_add_f32_e32 v24, v8, v19
	v_add_f32_e32 v19, v19, v21
	v_fmac_f32_e32 v8, -0.5, v19
	v_sub_f32_e32 v18, v18, v20
	v_mov_b32_e32 v19, v8
	v_fmac_f32_e32 v8, 0x3f5db3d7, v18
	v_mul_f32_e32 v29, -0.5, v7
	v_fmac_f32_e32 v29, 0x3f5db3d7, v8
	v_mul_f32_e32 v8, -0.5, v8
	v_fmac_f32_e32 v8, 0xbf5db3d7, v7
	v_add_f32_e32 v22, v22, v20
	v_add_f32_e32 v24, v24, v21
	;; [unrolled: 1-line block ×4, first 2 shown]
	v_sub_f32_e32 v3, v3, v29
	v_sub_f32_e32 v8, v4, v8
	v_mul_u32_u24_e32 v4, 0x360, v72
	v_lshlrev_b32_e32 v29, 2, v73
	v_fmac_f32_e32 v19, 0xbf5db3d7, v18
	v_add_f32_e32 v18, v2, v22
	v_mul_f32_e32 v20, 0.5, v25
	v_add_f32_e32 v31, v6, v24
	v_sub_f32_e32 v2, v2, v22
	v_sub_f32_e32 v22, v6, v24
	v_add3_u32 v24, 0, v4, v29
	v_add_f32_e32 v33, v5, v32
	v_sub_f32_e32 v5, v5, v32
	v_fmac_f32_e32 v20, 0x3f5db3d7, v19
	v_mul_f32_e32 v25, 0xbf5db3d7, v25
	ds_write2_b32 v24, v1, v17 offset1:36
	ds_write2_b32 v24, v33, v10 offset0:72 offset1:108
	ds_write2_b32 v24, v14, v5 offset0:144 offset1:180
	v_mul_i32_i24_e32 v1, 0x360, v74
	s_movk_i32 s2, 0xfd30
	v_add_f32_e32 v21, v27, v20
	v_fmac_f32_e32 v25, 0.5, v19
	v_add3_u32 v10, 0, v1, v29
	v_mad_i32_i24 v36, v72, s2, v24
	v_mul_i32_i24_e32 v5, 0x90, v35
	v_add_f32_e32 v19, v23, v25
	v_sub_f32_e32 v20, v27, v20
	v_sub_f32_e32 v23, v23, v25
	ds_write2_b32 v10, v18, v21 offset1:36
	ds_write2_b32 v10, v30, v2 offset0:72 offset1:108
	ds_write2_b32 v10, v20, v3 offset0:144 offset1:180
	v_add_u32_e32 v25, 0x17a0, v36
	v_mul_i32_i24_e32 v3, 0x90, v28
	v_add_u32_e32 v30, 0x1f80, v36
	v_add3_u32 v32, 0, v5, v29
	v_mul_i32_i24_e32 v5, 0x90, v11
	v_add_u32_e32 v43, 0x2760, v36
	v_mul_i32_i24_e32 v14, 0x90, v34
	s_waitcnt lgkmcnt(0)
	s_barrier
	ds_read2_b32 v[1:2], v25 offset1:252
	v_mad_i32_i24 v37, v74, s2, v10
	v_add3_u32 v27, 0, v3, v29
	ds_read2_b32 v[3:4], v30 offset1:252
	v_add3_u32 v33, 0, v5, v29
	ds_read2_b32 v[5:6], v43 offset1:252
	v_add3_u32 v40, 0, v14, v29
	ds_read_b32 v41, v36
	ds_read_b32 v44, v37
	;; [unrolled: 1-line block ×6, first 2 shown]
	s_waitcnt lgkmcnt(0)
	s_barrier
	ds_write2_b32 v24, v38, v39 offset1:36
	ds_write2_b32 v24, v9, v16 offset0:72 offset1:108
	ds_write2_b32 v24, v15, v26 offset0:144 offset1:180
	ds_write2_b32 v10, v31, v19 offset1:36
	ds_write2_b32 v10, v7, v22 offset0:72 offset1:108
	ds_write2_b32 v10, v23, v8 offset0:144 offset1:180
	v_mul_lo_u16_e32 v7, 43, v72
	v_lshrrev_b16_e32 v24, 8, v7
	v_mul_lo_u16_e32 v7, 6, v24
	v_sub_u16_e32 v26, v72, v7
	v_mov_b32_e32 v7, 3
	v_lshlrev_b32_sdwa v7, v7, v26 dst_sel:DWORD dst_unused:UNUSED_PAD src0_sel:DWORD src1_sel:BYTE_0
	s_movk_i32 s2, 0xab
	s_waitcnt lgkmcnt(0)
	s_barrier
	global_load_dwordx2 v[7:8], v7, s[18:19]
	v_mul_lo_u16_sdwa v9, v74, s2 dst_sel:DWORD dst_unused:UNUSED_PAD src0_sel:BYTE_0 src1_sel:DWORD
	v_lshrrev_b16_e32 v31, 10, v9
	v_mul_lo_u16_sdwa v14, v28, s2 dst_sel:DWORD dst_unused:UNUSED_PAD src0_sel:BYTE_0 src1_sel:DWORD
	v_mul_lo_u16_e32 v9, 6, v31
	v_lshrrev_b16_e32 v50, 10, v14
	v_sub_u16_e32 v9, v74, v9
	v_mul_lo_u16_e32 v14, 6, v50
	v_and_b32_e32 v47, 0xff, v9
	v_sub_u16_e32 v14, v28, v14
	v_lshlrev_b32_e32 v9, 3, v47
	global_load_dwordx2 v[9:10], v9, s[18:19]
	v_and_b32_e32 v28, 0xff, v14
	v_mul_lo_u16_sdwa v16, v35, s2 dst_sel:DWORD dst_unused:UNUSED_PAD src0_sel:BYTE_0 src1_sel:DWORD
	v_lshlrev_b32_e32 v14, 3, v28
	global_load_dwordx2 v[14:15], v14, s[18:19]
	v_lshrrev_b16_e32 v51, 10, v16
	v_mul_lo_u16_e32 v16, 6, v51
	v_mul_lo_u16_sdwa v18, v11, s2 dst_sel:DWORD dst_unused:UNUSED_PAD src0_sel:BYTE_0 src1_sel:DWORD
	v_sub_u16_e32 v16, v35, v16
	v_lshrrev_b16_e32 v53, 10, v18
	v_and_b32_e32 v52, 0xff, v16
	v_mul_lo_u16_e32 v18, 6, v53
	v_lshlrev_b32_e32 v16, 3, v52
	global_load_dwordx2 v[16:17], v16, s[18:19]
	v_sub_u16_e32 v11, v11, v18
	v_mul_lo_u16_sdwa v18, v34, s2 dst_sel:DWORD dst_unused:UNUSED_PAD src0_sel:BYTE_0 src1_sel:DWORD
	v_lshrrev_b16_e32 v54, 10, v18
	v_mul_lo_u16_e32 v18, 6, v54
	v_sub_u16_e32 v18, v34, v18
	v_and_b32_e32 v11, 0xff, v11
	v_and_b32_e32 v55, 0xff, v18
	v_lshlrev_b32_e32 v18, 3, v11
	global_load_dwordx2 v[20:21], v18, s[18:19]
	v_lshlrev_b32_e32 v18, 3, v55
	global_load_dwordx2 v[18:19], v18, s[18:19]
	ds_read2_b32 v[22:23], v25 offset1:252
	ds_read_b32 v38, v32
	ds_read_b32 v35, v33
	;; [unrolled: 1-line block ×3, first 2 shown]
	v_mad_legacy_u16 v32, v24, 12, v26
	s_movk_i32 s2, 0x90
	v_mad_u32_u24 v28, v50, 12, v28
	v_mul_u32_u24_e32 v28, 0x90, v28
	v_mad_u32_u24 v11, v53, 12, v11
	v_mul_u32_u24_e32 v11, 0x90, v11
                                        ; implicit-def: $vgpr80
                                        ; implicit-def: $vgpr81
	s_waitcnt vmcnt(5) lgkmcnt(3)
	v_mul_f32_e32 v24, v22, v8
	v_fma_f32 v24, v1, v7, -v24
	v_sub_f32_e32 v33, v41, v24
	v_fma_f32 v56, v41, 2.0, -v33
	ds_read_b32 v41, v36
	ds_read_b32 v40, v27
	;; [unrolled: 1-line block ×3, first 2 shown]
	ds_read2_b32 v[26:27], v30 offset1:252
	ds_read2_b32 v[24:25], v43 offset1:252
	v_mul_u32_u24_sdwa v30, v32, s2 dst_sel:DWORD dst_unused:UNUSED_PAD src0_sel:BYTE_0 src1_sel:DWORD
	v_add3_u32 v39, 0, v30, v29
	v_mad_u32_u24 v30, v31, 12, v47
	v_mul_u32_u24_e32 v30, 0x90, v30
	v_add3_u32 v43, 0, v30, v29
	s_waitcnt vmcnt(4) lgkmcnt(0)
	v_mul_f32_e32 v31, v23, v10
	v_fma_f32 v31, v2, v9, -v31
	v_sub_f32_e32 v31, v44, v31
	v_fma_f32 v32, v44, 2.0, -v31
	s_waitcnt vmcnt(3)
	v_mul_f32_e32 v30, v26, v15
	v_fma_f32 v30, v3, v14, -v30
	v_sub_f32_e32 v30, v45, v30
	s_waitcnt vmcnt(0)
	s_barrier
	ds_write2_b32 v39, v56, v33 offset1:216
	ds_write2_b32 v43, v32, v31 offset1:216
	v_fma_f32 v31, v45, 2.0, -v30
	v_add3_u32 v44, 0, v28, v29
	ds_write2_b32 v44, v31, v30 offset1:216
	v_mad_u32_u24 v28, v51, 12, v52
	v_mul_f32_e32 v30, v27, v17
	v_fma_f32 v30, v4, v16, -v30
	v_mul_u32_u24_e32 v28, 0x90, v28
	v_sub_f32_e32 v75, v46, v30
	v_add3_u32 v45, 0, v28, v29
	v_mad_u32_u24 v28, v54, 12, v55
	v_fma_f32 v30, v46, 2.0, -v75
	v_add3_u32 v46, 0, v11, v29
	v_mul_u32_u24_e32 v11, 0x90, v28
	v_add3_u32 v47, 0, v11, v29
	v_mul_f32_e32 v11, v24, v21
	v_fma_f32 v11, v5, v20, -v11
	v_mul_f32_e32 v28, v25, v19
	v_fma_f32 v28, v6, v18, -v28
	v_sub_f32_e32 v78, v48, v11
	v_fma_f32 v79, v48, 2.0, -v78
	v_sub_f32_e32 v76, v49, v28
	ds_write2_b32 v45, v30, v75 offset1:216
	v_fma_f32 v77, v49, 2.0, -v76
	ds_write2_b32 v46, v79, v78 offset1:216
	ds_write2_b32 v47, v77, v76 offset1:216
	s_waitcnt lgkmcnt(0)
	s_barrier
	ds_read_b32 v11, v36
	ds_read_b32 v33, v36 offset:1728
	ds_read_b32 v32, v36 offset:3456
	;; [unrolled: 1-line block ×6, first 2 shown]
	s_movk_i32 s2, 0xb4
	v_cmp_gt_u32_e64 s[2:3], s2, v0
	s_and_saveexec_b64 s[10:11], s[2:3]
	s_cbranch_execz .LBB0_12
; %bb.11:
	ds_read_b32 v79, v36 offset:2736
	ds_read_b32 v78, v36 offset:4464
	;; [unrolled: 1-line block ×5, first 2 shown]
	ds_read_b32 v75, v37
	ds_read_b32 v80, v36 offset:11376
.LBB0_12:
	s_or_b64 exec, exec, s[10:11]
	v_mul_f32_e32 v0, v1, v8
	v_mul_f32_e32 v1, v2, v10
	v_fmac_f32_e32 v0, v22, v7
	v_fmac_f32_e32 v1, v23, v9
	v_mul_f32_e32 v2, v3, v15
	v_mul_f32_e32 v3, v4, v17
	;; [unrolled: 1-line block ×4, first 2 shown]
	v_fmac_f32_e32 v2, v26, v14
	v_fmac_f32_e32 v3, v27, v16
	;; [unrolled: 1-line block ×4, first 2 shown]
	v_sub_f32_e32 v0, v41, v0
	v_sub_f32_e32 v1, v42, v1
	v_fma_f32 v6, v41, 2.0, -v0
	v_fma_f32 v7, v42, 2.0, -v1
	v_sub_f32_e32 v2, v40, v2
	v_sub_f32_e32 v82, v38, v3
	;; [unrolled: 1-line block ×4, first 2 shown]
	v_fma_f32 v8, v40, 2.0, -v2
	v_fma_f32 v3, v38, 2.0, -v82
	v_fma_f32 v86, v35, 2.0, -v85
	v_fma_f32 v84, v34, 2.0, -v83
	s_waitcnt lgkmcnt(0)
	s_barrier
	ds_write2_b32 v39, v6, v0 offset1:216
	ds_write2_b32 v43, v7, v1 offset1:216
	;; [unrolled: 1-line block ×6, first 2 shown]
	s_waitcnt lgkmcnt(0)
	s_barrier
	ds_read_b32 v7, v36
	ds_read_b32 v17, v36 offset:1728
	ds_read_b32 v16, v36 offset:3456
	;; [unrolled: 1-line block ×6, first 2 shown]
                                        ; implicit-def: $vgpr87
                                        ; implicit-def: $vgpr88
	s_and_saveexec_b64 s[10:11], s[2:3]
	s_cbranch_execz .LBB0_14
; %bb.13:
	ds_read_b32 v86, v36 offset:2736
	ds_read_b32 v85, v36 offset:4464
	;; [unrolled: 1-line block ×5, first 2 shown]
	ds_read_b32 v82, v37
	ds_read_b32 v87, v36 offset:11376
.LBB0_14:
	s_or_b64 exec, exec, s[10:11]
	v_and_b32_e32 v89, 0xffff, v72
	v_mul_u32_u24_e32 v0, 6, v89
	v_lshlrev_b32_e32 v0, 3, v0
	global_load_dwordx4 v[18:21], v0, s[18:19] offset:48
	global_load_dwordx4 v[22:25], v0, s[18:19] offset:64
	;; [unrolled: 1-line block ×3, first 2 shown]
	s_movk_i32 s10, 0xab
	s_load_dwordx2 s[4:5], s[4:5], 0x8
	v_mul_lo_u16_sdwa v0, v74, s10 dst_sel:DWORD dst_unused:UNUSED_PAD src0_sel:BYTE_0 src1_sel:DWORD
	v_mul_lo_u32 v1, v12, v89
	v_lshrrev_b16_e32 v0, 11, v0
	v_mul_lo_u16_e32 v0, 12, v0
	v_mov_b32_e32 v4, 3
	v_sub_u16_e32 v0, v74, v0
	v_and_b32_e32 v6, 0xff, v0
	v_lshlrev_b32_sdwa v0, v4, v1 dst_sel:DWORD dst_unused:UNUSED_PAD src0_sel:DWORD src1_sel:BYTE_0
	v_lshlrev_b32_sdwa v3, v4, v1 dst_sel:DWORD dst_unused:UNUSED_PAD src0_sel:DWORD src1_sel:BYTE_1
	s_waitcnt lgkmcnt(0)
	global_load_dwordx2 v[26:27], v0, s[4:5]
	global_load_dwordx2 v[38:39], v3, s[4:5] offset:2048
	v_add_u32_e32 v90, 12, v89
	v_mul_lo_u32 v2, v12, v90
	v_mov_b32_e32 v5, 0x1000
	v_bfe_u32 v1, v1, 16, 8
	v_lshl_or_b32 v1, v1, 3, v5
	v_lshlrev_b32_sdwa v44, v4, v2 dst_sel:DWORD dst_unused:UNUSED_PAD src0_sel:DWORD src1_sel:BYTE_0
	global_load_dwordx2 v[40:41], v1, s[4:5]
	global_load_dwordx2 v[42:43], v44, s[4:5]
	v_mul_u32_u24_e32 v8, 6, v6
	v_lshlrev_b32_sdwa v46, v4, v2 dst_sel:DWORD dst_unused:UNUSED_PAD src0_sel:DWORD src1_sel:BYTE_1
	v_bfe_u32 v2, v2, 16, 8
	v_lshlrev_b32_e32 v8, 3, v8
	v_lshl_or_b32 v47, v2, 3, v5
	global_load_dwordx2 v[44:45], v46, s[4:5] offset:2048
	global_load_dwordx4 v[0:3], v8, s[18:19] offset:48
	v_or_b32_e32 v91, 24, v89
	s_mov_b32 s11, 0x3f3bfb3b
	v_add_u32_e32 v92, 36, v89
	s_mov_b32 s10, 0x3f5ff5aa
	v_or_b32_e32 v93, 48, v89
	v_add_u32_e32 v94, 60, v89
	v_or_b32_e32 v95, 0x48, v89
	v_mul_lo_u32 v60, v12, v95
	s_andn2_b64 vcc, exec, s[0:1]
	v_lshlrev_b32_sdwa v62, v4, v60 dst_sel:DWORD dst_unused:UNUSED_PAD src0_sel:DWORD src1_sel:BYTE_1
	s_waitcnt vmcnt(8)
	v_mul_f32_e32 v46, v17, v19
	v_mul_f32_e32 v19, v33, v19
	;; [unrolled: 1-line block ×4, first 2 shown]
	s_waitcnt vmcnt(7)
	v_mul_f32_e32 v50, v14, v25
	v_mul_f32_e32 v25, v30, v25
	s_waitcnt vmcnt(6)
	v_mul_f32_e32 v51, v10, v35
	v_mul_f32_e32 v35, v29, v35
	;; [unrolled: 1-line block ×6, first 2 shown]
	v_fma_f32 v33, v33, v18, -v46
	v_fmac_f32_e32 v19, v17, v18
	v_fma_f32 v17, v32, v20, -v48
	v_fmac_f32_e32 v21, v16, v20
	v_fmac_f32_e32 v25, v14, v24
	v_fma_f32 v14, v29, v34, -v51
	v_fmac_f32_e32 v35, v10, v34
	v_fma_f32 v10, v28, v36, -v52
	;; [unrolled: 2-line block ×4, first 2 shown]
	v_add_f32_e32 v9, v33, v10
	v_add_f32_e32 v18, v19, v37
	v_sub_f32_e32 v20, v33, v10
	v_add_f32_e32 v10, v17, v14
	v_add_f32_e32 v22, v21, v35
	v_sub_f32_e32 v14, v17, v14
	v_sub_f32_e32 v17, v21, v35
	v_add_f32_e32 v21, v16, v15
	v_add_f32_e32 v24, v23, v25
	v_sub_f32_e32 v15, v15, v16
	;; [unrolled: 4-line block ×3, first 2 shown]
	v_sub_f32_e32 v30, v9, v21
	v_sub_f32_e32 v18, v18, v24
	;; [unrolled: 1-line block ×4, first 2 shown]
	v_add_f32_e32 v21, v21, v23
	v_add_f32_e32 v23, v24, v25
	v_mul_lo_u32 v24, v12, v91
	v_sub_f32_e32 v28, v10, v9
	global_load_dwordx2 v[9:10], v47, s[4:5]
	v_add_f32_e32 v11, v11, v21
	v_sub_f32_e32 v19, v19, v37
	v_add_f32_e32 v32, v15, v14
	v_add_f32_e32 v33, v16, v17
	;; [unrolled: 1-line block ×3, first 2 shown]
	v_mov_b32_e32 v50, v11
	v_sub_f32_e32 v36, v20, v15
	v_sub_f32_e32 v37, v19, v16
	;; [unrolled: 1-line block ×4, first 2 shown]
	v_add_f32_e32 v20, v32, v20
	v_add_f32_e32 v32, v33, v19
	v_lshlrev_b32_sdwa v19, v4, v24 dst_sel:DWORD dst_unused:UNUSED_PAD src0_sel:DWORD src1_sel:BYTE_0
	v_lshlrev_b32_sdwa v25, v4, v24 dst_sel:DWORD dst_unused:UNUSED_PAD src0_sel:DWORD src1_sel:BYTE_1
	v_mul_f32_e32 v47, 0x3d64c772, v22
	v_fmac_f32_e32 v50, 0xbf955555, v21
	v_mov_b32_e32 v21, v7
	v_sub_f32_e32 v34, v15, v14
	v_sub_f32_e32 v35, v16, v17
	global_load_dwordx2 v[14:15], v19, s[4:5]
	global_load_dwordx2 v[16:17], v25, s[4:5] offset:2048
	v_mul_f32_e32 v25, 0x3f4a47b2, v30
	v_mul_f32_e32 v30, 0x3f4a47b2, v18
	v_bfe_u32 v18, v24, 16, 8
	v_fmac_f32_e32 v21, 0xbf955555, v23
	v_fma_f32 v24, v29, s11, -v47
	v_lshl_or_b32 v18, v18, 3, v5
	v_add_f32_e32 v57, v24, v21
	v_mul_lo_u32 v24, v12, v92
	v_mul_f32_e32 v33, 0x3d64c772, v31
	global_load_dwordx2 v[18:19], v18, s[4:5]
	v_mul_f32_e32 v49, 0xbf08b237, v34
	v_mul_f32_e32 v52, 0xbf08b237, v35
	v_fma_f32 v23, v28, s11, -v33
	s_mov_b32 s11, 0xbf3bfb3b
	v_mul_f32_e32 v34, 0x3f5ff5aa, v46
	v_fma_f32 v28, v28, s11, -v25
	v_fmac_f32_e32 v25, 0x3d64c772, v31
	v_fma_f32 v46, v46, s10, -v49
	v_fma_f32 v47, v48, s10, -v52
	s_mov_b32 s10, 0xbeae86e6
	v_mul_f32_e32 v35, 0x3f5ff5aa, v48
	v_fma_f32 v29, v29, s11, -v30
	v_fmac_f32_e32 v30, 0x3d64c772, v22
	v_fmac_f32_e32 v49, 0x3eae86e6, v36
	v_fma_f32 v48, v36, s10, -v34
	v_add_f32_e32 v54, v25, v50
	v_lshlrev_b32_sdwa v25, v4, v24 dst_sel:DWORD dst_unused:UNUSED_PAD src0_sel:DWORD src1_sel:BYTE_0
	v_add_f32_e32 v55, v30, v21
	v_add_f32_e32 v56, v23, v50
	;; [unrolled: 1-line block ×4, first 2 shown]
	v_fmac_f32_e32 v49, 0x3ee1c552, v20
	v_fmac_f32_e32 v46, 0x3ee1c552, v20
	;; [unrolled: 1-line block ×3, first 2 shown]
	v_lshlrev_b32_sdwa v28, v4, v24 dst_sel:DWORD dst_unused:UNUSED_PAD src0_sel:DWORD src1_sel:BYTE_1
	global_load_dwordx2 v[20:21], v25, s[4:5]
	global_load_dwordx2 v[22:23], v28, s[4:5] offset:2048
	v_bfe_u32 v24, v24, 16, 8
	v_lshl_or_b32 v24, v24, 3, v5
	v_mul_lo_u32 v33, v12, v93
	global_load_dwordx2 v[24:25], v24, s[4:5]
	v_fmac_f32_e32 v52, 0x3eae86e6, v37
	v_fma_f32 v53, v37, s10, -v35
	v_fmac_f32_e32 v52, 0x3ee1c552, v32
	v_fmac_f32_e32 v47, 0x3ee1c552, v32
	;; [unrolled: 1-line block ×3, first 2 shown]
	s_waitcnt vmcnt(11)
	v_mul_f32_e32 v28, v27, v39
	v_lshlrev_b32_sdwa v32, v4, v33 dst_sel:DWORD dst_unused:UNUSED_PAD src0_sel:DWORD src1_sel:BYTE_0
	v_fma_f32 v50, v26, v38, -v28
	v_lshlrev_b32_sdwa v34, v4, v33 dst_sel:DWORD dst_unused:UNUSED_PAD src0_sel:DWORD src1_sel:BYTE_1
	global_load_dwordx2 v[28:29], v32, s[4:5]
	global_load_dwordx2 v[30:31], v34, s[4:5] offset:2048
	v_bfe_u32 v32, v33, 16, 8
	v_mul_lo_u32 v36, v12, v94
	v_lshl_or_b32 v32, v32, 3, v5
	global_load_dwordx2 v[32:33], v32, s[4:5]
	v_mul_f32_e32 v39, v26, v39
	v_lshlrev_b32_sdwa v26, v4, v36 dst_sel:DWORD dst_unused:UNUSED_PAD src0_sel:DWORD src1_sel:BYTE_0
	v_lshlrev_b32_sdwa v34, v4, v36 dst_sel:DWORD dst_unused:UNUSED_PAD src0_sel:DWORD src1_sel:BYTE_1
	global_load_dwordx2 v[34:35], v34, s[4:5] offset:2048
	v_bfe_u32 v36, v36, 16, 8
	v_lshl_or_b32 v36, v36, 3, v5
	global_load_dwordx2 v[36:37], v36, s[4:5]
	v_fmac_f32_e32 v39, v27, v38
	global_load_dwordx2 v[26:27], v26, s[4:5]
	s_waitcnt vmcnt(16)
	v_mul_f32_e32 v38, v39, v41
	v_fma_f32 v61, v40, v50, -v38
	v_mul_f32_e32 v51, v50, v41
	v_lshlrev_b32_sdwa v50, v4, v60 dst_sel:DWORD dst_unused:UNUSED_PAD src0_sel:DWORD src1_sel:BYTE_0
	v_fmac_f32_e32 v51, v40, v39
	global_load_dwordx2 v[38:39], v50, s[4:5]
	global_load_dwordx2 v[40:41], v62, s[4:5] offset:2048
	v_add_f32_e32 v66, v46, v57
	v_sub_f32_e32 v57, v57, v46
	v_bfe_u32 v46, v60, 16, 8
	v_lshl_or_b32 v46, v46, 3, v5
	v_sub_f32_e32 v63, v56, v47
	v_add_f32_e32 v56, v47, v56
	global_load_dwordx2 v[46:47], v46, s[4:5]
	v_mul_f32_e32 v50, v7, v51
	v_mul_f32_e32 v51, v11, v51
	v_fmac_f32_e32 v51, v7, v61
	s_waitcnt vmcnt(17)
	v_mul_f32_e32 v7, v43, v45
	v_fma_f32 v7, v42, v44, -v7
	v_mul_f32_e32 v42, v42, v45
	v_fmac_f32_e32 v42, v43, v44
	s_waitcnt vmcnt(15)
	v_mul_f32_e32 v43, v42, v10
	v_fma_f32 v43, v9, v7, -v43
	v_mul_f32_e32 v7, v7, v10
	v_fma_f32 v50, v11, v61, -v50
	v_add_f32_e32 v11, v53, v58
	v_sub_f32_e32 v53, v58, v53
	v_sub_f32_e32 v58, v59, v48
	v_add_f32_e32 v59, v48, v59
	v_sub_f32_e32 v48, v55, v49
	v_fmac_f32_e32 v7, v9, v42
	v_add_f32_e32 v62, v52, v54
	v_mul_f32_e32 v9, v48, v7
	v_fma_f32 v68, v62, v43, -v9
	s_waitcnt vmcnt(13)
	v_mul_f32_e32 v9, v14, v17
	v_mul_f32_e32 v69, v62, v7
	;; [unrolled: 1-line block ×3, first 2 shown]
	v_fmac_f32_e32 v9, v15, v16
	v_fma_f32 v7, v14, v16, -v7
	s_waitcnt vmcnt(12)
	v_mul_f32_e32 v10, v9, v19
	v_fma_f32 v10, v18, v7, -v10
	v_mul_f32_e32 v7, v7, v19
	v_fmac_f32_e32 v7, v18, v9
	v_mul_f32_e32 v9, v58, v7
	v_fma_f32 v60, v11, v10, -v9
	v_mul_f32_e32 v61, v11, v7
	v_fmac_f32_e32 v61, v58, v10
	v_fmac_f32_e32 v69, v48, v43
	v_add_f32_e32 v9, v49, v55
	v_sub_f32_e32 v7, v54, v52
	s_waitcnt vmcnt(10)
	v_mul_f32_e32 v11, v20, v23
	v_mul_f32_e32 v10, v21, v23
	v_fmac_f32_e32 v11, v21, v22
	v_fma_f32 v10, v20, v22, -v10
	s_waitcnt vmcnt(9)
	v_mul_f32_e32 v14, v11, v25
	v_fma_f32 v14, v24, v10, -v14
	v_mul_f32_e32 v10, v10, v25
	v_fmac_f32_e32 v10, v24, v11
	v_mul_f32_e32 v11, v66, v10
	v_fma_f32 v64, v63, v14, -v11
	v_mul_f32_e32 v65, v63, v10
	v_fmac_f32_e32 v65, v66, v14
	s_waitcnt vmcnt(7)
	v_mul_f32_e32 v11, v28, v31
	v_mul_f32_e32 v10, v29, v31
	v_fmac_f32_e32 v11, v29, v30
	v_fma_f32 v10, v28, v30, -v10
	s_waitcnt vmcnt(6)
	v_mul_f32_e32 v14, v11, v33
	v_fma_f32 v14, v32, v10, -v14
	v_mul_f32_e32 v10, v10, v33
	v_fmac_f32_e32 v10, v32, v11
	v_mul_f32_e32 v11, v57, v10
	v_fma_f32 v48, v56, v14, -v11
	v_mul_f32_e32 v49, v56, v10
	v_fmac_f32_e32 v49, v57, v14
	s_waitcnt vmcnt(3)
	v_mul_f32_e32 v11, v26, v35
	v_mul_f32_e32 v10, v27, v35
	v_fmac_f32_e32 v11, v27, v34
	v_fma_f32 v10, v26, v34, -v10
	v_mul_f32_e32 v14, v11, v37
	v_fma_f32 v14, v36, v10, -v14
	v_mul_f32_e32 v10, v10, v37
	v_fmac_f32_e32 v10, v36, v11
	v_mul_f32_e32 v11, v59, v10
	v_fma_f32 v54, v53, v14, -v11
	v_mul_lo_u32 v11, v12, v6
	s_waitcnt vmcnt(1)
	v_mul_f32_e32 v20, v38, v41
	v_mul_f32_e32 v55, v53, v10
	;; [unrolled: 1-line block ×3, first 2 shown]
	v_lshlrev_b32_sdwa v21, v4, v11 dst_sel:DWORD dst_unused:UNUSED_PAD src0_sel:DWORD src1_sel:BYTE_0
	v_lshlrev_b32_sdwa v22, v4, v11 dst_sel:DWORD dst_unused:UNUSED_PAD src0_sel:DWORD src1_sel:BYTE_1
	v_bfe_u32 v11, v11, 16, 8
	v_fmac_f32_e32 v20, v39, v40
	v_lshl_or_b32 v11, v11, 3, v5
	v_fmac_f32_e32 v55, v59, v14
	v_fma_f32 v10, v38, v40, -v10
	global_load_dwordx2 v[16:17], v21, s[4:5]
	global_load_dwordx2 v[18:19], v22, s[4:5] offset:2048
	global_load_dwordx2 v[14:15], v11, s[4:5]
	s_waitcnt vmcnt(3)
	v_mul_f32_e32 v11, v20, v47
	v_fma_f32 v11, v46, v10, -v11
	v_mul_f32_e32 v10, v10, v47
	v_fmac_f32_e32 v10, v46, v20
	v_add_u32_e32 v21, 12, v6
	v_mul_f32_e32 v71, v7, v10
	v_mul_f32_e32 v20, v9, v10
	v_mul_lo_u32 v21, v12, v21
	v_fmac_f32_e32 v71, v9, v11
	v_add_u32_e32 v9, 24, v6
	v_mul_lo_u32 v9, v12, v9
	v_fma_f32 v70, v7, v11, -v20
	v_lshlrev_b32_sdwa v7, v4, v21 dst_sel:DWORD dst_unused:UNUSED_PAD src0_sel:DWORD src1_sel:BYTE_0
	v_bfe_u32 v11, v21, 16, 8
	v_lshlrev_b32_sdwa v10, v4, v21 dst_sel:DWORD dst_unused:UNUSED_PAD src0_sel:DWORD src1_sel:BYTE_1
	v_lshl_or_b32 v11, v11, 3, v5
	v_lshlrev_b32_sdwa v22, v4, v9 dst_sel:DWORD dst_unused:UNUSED_PAD src0_sel:DWORD src1_sel:BYTE_0
	global_load_dwordx2 v[26:27], v7, s[4:5]
	global_load_dwordx2 v[28:29], v10, s[4:5] offset:2048
	global_load_dwordx2 v[24:25], v11, s[4:5]
	global_load_dwordx2 v[20:21], v22, s[4:5]
	v_add_u32_e32 v7, 36, v6
	v_mul_lo_u32 v7, v12, v7
	v_or_b32_e32 v22, 48, v6
	v_mul_lo_u32 v22, v12, v22
	v_lshlrev_b32_sdwa v10, v4, v9 dst_sel:DWORD dst_unused:UNUSED_PAD src0_sel:DWORD src1_sel:BYTE_1
	v_lshlrev_b32_sdwa v11, v4, v7 dst_sel:DWORD dst_unused:UNUSED_PAD src0_sel:DWORD src1_sel:BYTE_0
	v_lshlrev_b32_sdwa v40, v4, v7 dst_sel:DWORD dst_unused:UNUSED_PAD src0_sel:DWORD src1_sel:BYTE_1
	v_bfe_u32 v7, v7, 16, 8
	v_lshl_or_b32 v41, v7, 3, v5
	v_add_u32_e32 v7, 60, v6
	v_add_u32_e32 v6, 0x48, v6
	v_mul_lo_u32 v7, v12, v7
	v_mul_lo_u32 v6, v12, v6
	v_bfe_u32 v9, v9, 16, 8
	v_lshl_or_b32 v9, v9, 3, v5
	v_lshlrev_b32_sdwa v96, v4, v22 dst_sel:DWORD dst_unused:UNUSED_PAD src0_sel:DWORD src1_sel:BYTE_0
	v_lshlrev_b32_sdwa v97, v4, v22 dst_sel:DWORD dst_unused:UNUSED_PAD src0_sel:DWORD src1_sel:BYTE_1
	v_bfe_u32 v22, v22, 16, 8
	v_lshlrev_b32_sdwa v99, v4, v7 dst_sel:DWORD dst_unused:UNUSED_PAD src0_sel:DWORD src1_sel:BYTE_0
	v_lshlrev_b32_sdwa v100, v4, v7 dst_sel:DWORD dst_unused:UNUSED_PAD src0_sel:DWORD src1_sel:BYTE_1
	v_bfe_u32 v7, v7, 16, 8
	;; [unrolled: 3-line block ×3, first 2 shown]
	v_lshl_or_b32 v98, v22, 3, v5
	v_lshl_or_b32 v101, v7, 3, v5
	;; [unrolled: 1-line block ×3, first 2 shown]
	global_load_dwordx2 v[66:67], v10, s[4:5] offset:2048
	global_load_dwordx2 v[62:63], v9, s[4:5]
	global_load_dwordx2 v[56:57], v11, s[4:5]
	global_load_dwordx2 v[58:59], v40, s[4:5] offset:2048
	global_load_dwordx2 v[52:53], v41, s[4:5]
	global_load_dwordx2 v[44:45], v96, s[4:5]
	;; [unrolled: 3-line block ×4, first 2 shown]
	global_load_dwordx2 v[32:33], v103, s[4:5] offset:2048
	global_load_dwordx2 v[22:23], v104, s[4:5]
	global_load_dwordx4 v[4:7], v8, s[18:19] offset:80
                                        ; kill: killed $vgpr100
                                        ; kill: killed $vgpr98
                                        ; kill: killed $sgpr4_sgpr5
                                        ; kill: killed $vgpr99
                                        ; kill: killed $vgpr97
                                        ; kill: killed $vgpr41
                                        ; kill: killed $vgpr96
                                        ; kill: killed $vgpr40
                                        ; kill: killed $vgpr9
                                        ; kill: killed $vgpr11
                                        ; kill: killed $vgpr10
                                        ; kill: killed $vgpr104
                                        ; kill: killed $vgpr103
                                        ; kill: killed $vgpr101
                                        ; kill: killed $vgpr102
	s_nop 0
	global_load_dwordx4 v[8:11], v8, s[18:19] offset:64
	s_cbranch_vccnz .LBB0_16
; %bb.15:
	v_mad_u64_u32 v[40:41], s[0:1], s8, v73, 0
	v_mad_u64_u32 v[96:97], s[0:1], s12, v89, 0
	s_waitcnt vmcnt(8)
	v_mad_u64_u32 v[98:99], s[0:1], s9, v73, v[41:42]
	v_mov_b32_e32 v41, v97
	v_mad_u64_u32 v[99:100], s[0:1], s13, v89, v[41:42]
	v_mov_b32_e32 v41, v98
	s_lshl_b64 s[0:1], s[6:7], 3
	s_add_u32 s0, s14, s0
	v_lshlrev_b64 v[40:41], 3, v[40:41]
	s_addc_u32 s1, s15, s1
	v_mov_b32_e32 v98, s1
	v_add_co_u32_e32 v40, vcc, s0, v40
	v_mov_b32_e32 v97, v99
	v_addc_co_u32_e32 v41, vcc, v98, v41, vcc
	v_mad_u64_u32 v[98:99], s[0:1], s12, v90, 0
	v_lshlrev_b64 v[96:97], 3, v[96:97]
	v_mad_u64_u32 v[99:100], s[0:1], s13, v90, v[99:100]
	v_mad_u64_u32 v[100:101], s[0:1], s12, v91, 0
	v_add_co_u32_e32 v96, vcc, v40, v96
	v_addc_co_u32_e32 v97, vcc, v41, v97, vcc
	global_store_dwordx2 v[96:97], v[50:51], off
	v_lshlrev_b64 v[96:97], 3, v[98:99]
	v_mov_b32_e32 v98, v101
	v_mad_u64_u32 v[98:99], s[0:1], s13, v91, v[98:99]
	v_add_co_u32_e32 v96, vcc, v40, v96
	v_mov_b32_e32 v101, v98
	v_mad_u64_u32 v[98:99], s[0:1], s12, v92, 0
	v_addc_co_u32_e32 v97, vcc, v41, v97, vcc
	global_store_dwordx2 v[96:97], v[68:69], off
	v_lshlrev_b64 v[96:97], 3, v[100:101]
	v_mad_u64_u32 v[99:100], s[0:1], s13, v92, v[99:100]
	v_mad_u64_u32 v[100:101], s[0:1], s12, v93, 0
	v_add_co_u32_e32 v96, vcc, v40, v96
	v_addc_co_u32_e32 v97, vcc, v41, v97, vcc
	global_store_dwordx2 v[96:97], v[60:61], off
	v_lshlrev_b64 v[96:97], 3, v[98:99]
	v_mov_b32_e32 v98, v101
	v_mad_u64_u32 v[98:99], s[0:1], s13, v93, v[98:99]
	v_add_co_u32_e32 v96, vcc, v40, v96
	v_mov_b32_e32 v101, v98
	v_mad_u64_u32 v[98:99], s[0:1], s12, v94, 0
	v_addc_co_u32_e32 v97, vcc, v41, v97, vcc
	global_store_dwordx2 v[96:97], v[64:65], off
	v_lshlrev_b64 v[96:97], 3, v[100:101]
	v_mad_u64_u32 v[99:100], s[0:1], s13, v94, v[99:100]
	v_mad_u64_u32 v[100:101], s[0:1], s12, v95, 0
	v_add_co_u32_e32 v96, vcc, v40, v96
	v_addc_co_u32_e32 v97, vcc, v41, v97, vcc
	global_store_dwordx2 v[96:97], v[48:49], off
	v_lshlrev_b64 v[96:97], 3, v[98:99]
	v_mov_b32_e32 v98, v101
	v_mad_u64_u32 v[98:99], s[0:1], s13, v95, v[98:99]
	v_add_co_u32_e32 v95, vcc, v40, v96
	v_addc_co_u32_e32 v96, vcc, v41, v97, vcc
	v_mov_b32_e32 v101, v98
	global_store_dwordx2 v[95:96], v[54:55], off
	v_lshlrev_b64 v[95:96], 3, v[100:101]
	s_and_b64 s[0:1], s[2:3], exec
	v_add_co_u32_e32 v95, vcc, v40, v95
	v_addc_co_u32_e32 v96, vcc, v41, v96, vcc
	global_store_dwordx2 v[95:96], v[70:71], off
	s_cbranch_execz .LBB0_17
	s_branch .LBB0_20
.LBB0_16:
	s_mov_b64 s[0:1], 0
                                        ; implicit-def: $vgpr40_vgpr41
.LBB0_17:
	v_cmp_gt_u64_e32 vcc, s[16:17], v[12:13]
                                        ; implicit-def: $vgpr40_vgpr41
	s_and_saveexec_b64 s[4:5], vcc
	s_cbranch_execz .LBB0_19
; %bb.18:
	v_mad_u64_u32 v[12:13], s[10:11], s8, v73, 0
	v_mad_u64_u32 v[95:96], s[10:11], s12, v89, 0
	s_waitcnt vmcnt(20)
	v_mad_u64_u32 v[40:41], s[8:9], s9, v73, v[13:14]
	v_mov_b32_e32 v13, v96
	v_mad_u64_u32 v[96:97], s[8:9], s13, v89, v[13:14]
	v_mov_b32_e32 v13, v40
	s_lshl_b64 s[6:7], s[6:7], 3
	s_add_u32 s6, s14, s6
	v_lshlrev_b64 v[12:13], 3, v[12:13]
	s_addc_u32 s7, s15, s7
	v_mov_b32_e32 v41, s7
	v_add_co_u32_e32 v40, vcc, s6, v12
	v_addc_co_u32_e32 v41, vcc, v41, v13, vcc
	v_lshlrev_b64 v[12:13], 3, v[95:96]
	v_mad_u64_u32 v[95:96], s[6:7], s12, v90, 0
	v_add_co_u32_e32 v12, vcc, v40, v12
	v_mov_b32_e32 v73, v96
	v_mad_u64_u32 v[96:97], s[6:7], s13, v90, v[73:74]
	v_mad_u64_u32 v[97:98], s[6:7], s12, v91, 0
	v_addc_co_u32_e32 v13, vcc, v41, v13, vcc
	global_store_dwordx2 v[12:13], v[50:51], off
	v_mov_b32_e32 v50, v98
	v_mad_u64_u32 v[50:51], s[6:7], s13, v91, v[50:51]
	v_lshlrev_b64 v[12:13], 3, v[95:96]
	v_mad_u64_u32 v[90:91], s[6:7], s12, v93, 0
	v_mov_b32_e32 v98, v50
	v_mad_u64_u32 v[50:51], s[6:7], s12, v92, 0
	v_add_co_u32_e32 v12, vcc, v40, v12
	v_addc_co_u32_e32 v13, vcc, v41, v13, vcc
	global_store_dwordx2 v[12:13], v[68:69], off
	s_waitcnt vmcnt(13)
	v_mad_u64_u32 v[68:69], s[6:7], s13, v92, v[51:52]
	v_lshlrev_b64 v[12:13], 3, v[97:98]
	s_andn2_b64 s[0:1], s[0:1], exec
	v_add_co_u32_e32 v12, vcc, v40, v12
	v_addc_co_u32_e32 v13, vcc, v41, v13, vcc
	v_mov_b32_e32 v51, v68
	global_store_dwordx2 v[12:13], v[60:61], off
	v_lshlrev_b64 v[12:13], 3, v[50:51]
	v_mov_b32_e32 v50, v91
	v_mad_u64_u32 v[50:51], s[6:7], s13, v93, v[50:51]
	v_add_co_u32_e32 v12, vcc, v40, v12
	v_mov_b32_e32 v91, v50
	v_mad_u64_u32 v[50:51], s[6:7], s12, v94, 0
	v_addc_co_u32_e32 v13, vcc, v41, v13, vcc
	v_mad_u64_u32 v[60:61], s[6:7], s13, v94, v[51:52]
	v_or_b32_e32 v61, 0x48, v89
	global_store_dwordx2 v[12:13], v[64:65], off
	v_lshlrev_b64 v[12:13], 3, v[90:91]
	v_mad_u64_u32 v[64:65], s[6:7], s12, v61, 0
	v_add_co_u32_e32 v12, vcc, v40, v12
	v_addc_co_u32_e32 v13, vcc, v41, v13, vcc
	global_store_dwordx2 v[12:13], v[48:49], off
	v_mov_b32_e32 v48, v65
	v_mov_b32_e32 v51, v60
	v_mad_u64_u32 v[48:49], s[6:7], s13, v61, v[48:49]
	v_lshlrev_b64 v[12:13], 3, v[50:51]
	s_and_b64 s[2:3], s[2:3], exec
	v_add_co_u32_e32 v12, vcc, v40, v12
	v_addc_co_u32_e32 v13, vcc, v41, v13, vcc
	v_mov_b32_e32 v65, v48
	global_store_dwordx2 v[12:13], v[54:55], off
	v_lshlrev_b64 v[12:13], 3, v[64:65]
	s_or_b64 s[0:1], s[0:1], s[2:3]
	v_add_co_u32_e32 v12, vcc, v40, v12
	v_addc_co_u32_e32 v13, vcc, v41, v13, vcc
	global_store_dwordx2 v[12:13], v[70:71], off
.LBB0_19:
	s_or_b64 exec, exec, s[4:5]
.LBB0_20:
	s_and_saveexec_b64 s[2:3], s[0:1]
	s_cbranch_execnz .LBB0_22
; %bb.21:
	s_endpgm
.LBB0_22:
	v_mul_f32_e32 v12, v86, v1
	v_mul_f32_e32 v1, v79, v1
	v_fma_f32 v12, v79, v0, -v12
	v_fmac_f32_e32 v1, v86, v0
	v_mul_f32_e32 v0, v85, v3
	v_mul_f32_e32 v3, v78, v3
	v_fma_f32 v0, v78, v2, -v0
	v_fmac_f32_e32 v3, v85, v2
	s_waitcnt vmcnt(0)
	v_mul_f32_e32 v2, v84, v9
	v_mul_f32_e32 v9, v77, v9
	v_fma_f32 v2, v77, v8, -v2
	v_fmac_f32_e32 v9, v84, v8
	v_mul_f32_e32 v8, v83, v11
	v_mul_f32_e32 v11, v76, v11
	v_fma_f32 v8, v76, v10, -v8
	v_fmac_f32_e32 v11, v83, v10
	;; [unrolled: 4-line block ×4, first 2 shown]
	v_add_f32_e32 v6, v12, v4
	v_add_f32_e32 v13, v1, v7
	v_sub_f32_e32 v1, v1, v7
	v_add_f32_e32 v7, v0, v10
	v_sub_f32_e32 v4, v12, v4
	;; [unrolled: 2-line block ×3, first 2 shown]
	v_sub_f32_e32 v3, v3, v5
	v_add_f32_e32 v5, v2, v8
	v_add_f32_e32 v10, v9, v11
	v_sub_f32_e32 v2, v8, v2
	v_sub_f32_e32 v8, v11, v9
	v_add_f32_e32 v9, v7, v6
	v_add_f32_e32 v11, v12, v13
	v_sub_f32_e32 v48, v7, v6
	v_sub_f32_e32 v6, v6, v5
	;; [unrolled: 1-line block ×3, first 2 shown]
	v_add_f32_e32 v5, v5, v9
	v_sub_f32_e32 v49, v12, v13
	v_sub_f32_e32 v13, v13, v10
	;; [unrolled: 1-line block ×3, first 2 shown]
	v_add_f32_e32 v9, v10, v11
	v_add_f32_e32 v10, v75, v5
	;; [unrolled: 1-line block ×5, first 2 shown]
	v_mov_b32_e32 v64, v10
	v_sub_f32_e32 v54, v2, v0
	v_sub_f32_e32 v55, v8, v3
	;; [unrolled: 1-line block ×6, first 2 shown]
	v_add_f32_e32 v4, v50, v4
	v_add_f32_e32 v1, v51, v1
	v_mul_f32_e32 v50, 0x3d64c772, v7
	v_mul_f32_e32 v51, 0x3d64c772, v12
	v_fmac_f32_e32 v64, 0xbf955555, v5
	v_mov_b32_e32 v5, v11
	s_mov_b32 s1, 0x3f3bfb3b
	v_mul_f32_e32 v6, 0x3f4a47b2, v6
	v_mul_f32_e32 v13, 0x3f4a47b2, v13
	;; [unrolled: 1-line block ×3, first 2 shown]
	s_mov_b32 s0, 0x3f5ff5aa
	v_fmac_f32_e32 v5, 0xbf955555, v9
	v_fma_f32 v9, v48, s1, -v50
	v_fma_f32 v50, v49, s1, -v51
	s_mov_b32 s1, 0xbf3bfb3b
	v_mul_f32_e32 v55, 0xbf08b237, v55
	v_mul_f32_e32 v60, 0x3f5ff5aa, v0
	v_fma_f32 v48, v48, s1, -v6
	v_fmac_f32_e32 v6, 0x3d64c772, v7
	v_fma_f32 v7, v49, s1, -v13
	v_fmac_f32_e32 v13, 0x3d64c772, v12
	v_fma_f32 v0, v0, s0, -v54
	v_mul_f32_e32 v61, 0x3f5ff5aa, v3
	v_fma_f32 v3, v3, s0, -v55
	s_mov_b32 s0, 0xbeae86e6
	v_add_f32_e32 v12, v13, v5
	v_add_f32_e32 v13, v50, v5
	v_fmac_f32_e32 v0, 0x3ee1c552, v4
	v_fmac_f32_e32 v54, 0x3eae86e6, v2
	;; [unrolled: 1-line block ×3, first 2 shown]
	v_fma_f32 v2, v2, s0, -v60
	v_fma_f32 v8, v8, s0, -v61
	v_add_f32_e32 v60, v0, v13
	v_sub_f32_e32 v13, v13, v0
	v_mul_f32_e32 v0, v17, v19
	v_add_f32_e32 v9, v9, v64
	v_fmac_f32_e32 v55, 0x3ee1c552, v1
	v_fmac_f32_e32 v3, 0x3ee1c552, v1
	;; [unrolled: 1-line block ×3, first 2 shown]
	v_fma_f32 v0, v16, v18, -v0
	v_mul_f32_e32 v1, v16, v19
	v_add_f32_e32 v5, v7, v5
	v_fmac_f32_e32 v2, 0x3ee1c552, v4
	v_sub_f32_e32 v51, v9, v3
	v_add_f32_e32 v9, v3, v9
	v_fmac_f32_e32 v1, v17, v18
	v_mul_f32_e32 v3, v0, v15
	v_sub_f32_e32 v50, v5, v2
	v_add_f32_e32 v61, v2, v5
	v_mul_f32_e32 v2, v1, v15
	v_fmac_f32_e32 v3, v14, v1
	v_fma_f32 v2, v14, v0, -v2
	v_mul_f32_e32 v0, v11, v3
	v_mul_f32_e32 v1, v10, v3
	v_fma_f32 v0, v10, v2, -v0
	v_fmac_f32_e32 v1, v11, v2
	v_mul_f32_e32 v2, v27, v29
	v_add_f32_e32 v6, v6, v64
	v_fma_f32 v2, v26, v28, -v2
	v_mul_f32_e32 v3, v26, v29
	v_fmac_f32_e32 v54, 0x3ee1c552, v4
	v_add_f32_e32 v4, v55, v6
	v_sub_f32_e32 v55, v6, v55
	v_fmac_f32_e32 v3, v27, v28
	v_mul_f32_e32 v6, v2, v25
	v_sub_f32_e32 v7, v12, v54
	v_mul_f32_e32 v5, v3, v25
	v_fmac_f32_e32 v6, v24, v3
	v_fma_f32 v5, v24, v2, -v5
	v_mul_f32_e32 v2, v7, v6
	v_fma_f32 v2, v4, v5, -v2
	v_mul_f32_e32 v3, v4, v6
	v_mul_f32_e32 v4, v21, v67
	v_fmac_f32_e32 v3, v7, v5
	v_fma_f32 v4, v20, v66, -v4
	v_mul_f32_e32 v5, v20, v67
	v_add_f32_e32 v48, v48, v64
	v_fmac_f32_e32 v5, v21, v66
	v_mul_f32_e32 v7, v4, v63
	v_add_f32_e32 v49, v8, v48
	v_mul_f32_e32 v6, v5, v63
	v_fmac_f32_e32 v7, v62, v5
	v_fma_f32 v6, v62, v4, -v6
	v_mul_f32_e32 v4, v50, v7
	v_mul_f32_e32 v5, v49, v7
	v_fma_f32 v4, v49, v6, -v4
	v_fmac_f32_e32 v5, v50, v6
	v_mul_f32_e32 v6, v57, v59
	v_fma_f32 v6, v56, v58, -v6
	v_mul_f32_e32 v7, v56, v59
	v_fmac_f32_e32 v7, v57, v58
	v_mul_f32_e32 v10, v6, v53
	v_sub_f32_e32 v48, v48, v8
	v_mul_f32_e32 v8, v7, v53
	v_fmac_f32_e32 v10, v52, v7
	v_fma_f32 v8, v52, v6, -v8
	v_mul_f32_e32 v6, v60, v10
	v_mul_f32_e32 v7, v51, v10
	v_fma_f32 v6, v51, v8, -v6
	v_fmac_f32_e32 v7, v60, v8
	v_mul_f32_e32 v8, v45, v47
	v_fma_f32 v8, v44, v46, -v8
	v_mul_f32_e32 v10, v44, v47
	v_add_f32_e32 v54, v54, v12
	v_fmac_f32_e32 v10, v45, v46
	v_mul_f32_e32 v12, v8, v43
	v_mul_f32_e32 v11, v10, v43
	v_fmac_f32_e32 v12, v42, v10
	v_fma_f32 v11, v42, v8, -v11
	v_mul_f32_e32 v8, v13, v12
	v_fma_f32 v8, v9, v11, -v8
	v_mul_f32_e32 v9, v9, v12
	v_mul_f32_e32 v10, v37, v39
	v_fmac_f32_e32 v9, v13, v11
	v_fma_f32 v10, v36, v38, -v10
	v_mul_f32_e32 v11, v36, v39
	v_fmac_f32_e32 v11, v37, v38
	v_mul_f32_e32 v13, v10, v35
	v_mul_f32_e32 v12, v11, v35
	v_fmac_f32_e32 v13, v34, v11
	v_fma_f32 v12, v34, v10, -v12
	v_mul_f32_e32 v10, v61, v13
	v_mul_f32_e32 v11, v48, v13
	;; [unrolled: 1-line block ×3, first 2 shown]
	v_fma_f32 v10, v48, v12, -v10
	v_fmac_f32_e32 v11, v61, v12
	v_mul_f32_e32 v12, v31, v33
	v_fmac_f32_e32 v15, v31, v32
	v_fma_f32 v14, v30, v32, -v12
	v_mul_f32_e32 v12, v15, v23
	v_fma_f32 v16, v22, v14, -v12
	v_mad_u64_u32 v[12:13], s[0:1], s12, v74, 0
	v_mul_f32_e32 v17, v14, v23
	v_fmac_f32_e32 v17, v22, v15
	v_mul_f32_e32 v15, v54, v17
	v_mad_u64_u32 v[13:14], s[0:1], s13, v74, v[13:14]
	v_fma_f32 v14, v55, v16, -v15
	v_mul_f32_e32 v15, v55, v17
	v_add_u32_e32 v18, 19, v72
	v_fmac_f32_e32 v15, v54, v16
	v_mad_u64_u32 v[16:17], s[0:1], s12, v18, 0
	v_add_u32_e32 v20, 31, v72
	v_lshlrev_b64 v[12:13], 3, v[12:13]
	v_mad_u64_u32 v[17:18], s[0:1], s13, v18, v[17:18]
	v_mad_u64_u32 v[18:19], s[0:1], s12, v20, 0
	v_add_co_u32_e32 v12, vcc, v40, v12
	v_addc_co_u32_e32 v13, vcc, v41, v13, vcc
	global_store_dwordx2 v[12:13], v[0:1], off
	v_mov_b32_e32 v12, v19
	v_mad_u64_u32 v[12:13], s[0:1], s13, v20, v[12:13]
	v_lshlrev_b64 v[0:1], 3, v[16:17]
	v_add_co_u32_e32 v0, vcc, v40, v0
	v_addc_co_u32_e32 v1, vcc, v41, v1, vcc
	v_mov_b32_e32 v19, v12
	v_add_u32_e32 v12, 43, v72
	global_store_dwordx2 v[0:1], v[2:3], off
	v_mad_u64_u32 v[2:3], s[0:1], s12, v12, 0
	v_lshlrev_b64 v[0:1], 3, v[18:19]
	v_mad_u64_u32 v[12:13], s[0:1], s13, v12, v[3:4]
	v_add_u32_e32 v13, 55, v72
	v_mad_u64_u32 v[16:17], s[0:1], s12, v13, 0
	v_add_co_u32_e32 v0, vcc, v40, v0
	v_addc_co_u32_e32 v1, vcc, v41, v1, vcc
	v_mov_b32_e32 v3, v12
	global_store_dwordx2 v[0:1], v[4:5], off
	v_lshlrev_b64 v[0:1], 3, v[2:3]
	v_mov_b32_e32 v2, v17
	v_mad_u64_u32 v[2:3], s[0:1], s13, v13, v[2:3]
	v_add_u32_e32 v4, 0x43, v72
	v_add_co_u32_e32 v0, vcc, v40, v0
	v_mov_b32_e32 v17, v2
	v_mad_u64_u32 v[2:3], s[0:1], s12, v4, 0
	v_addc_co_u32_e32 v1, vcc, v41, v1, vcc
	global_store_dwordx2 v[0:1], v[6:7], off
	v_mad_u64_u32 v[3:4], s[0:1], s13, v4, v[3:4]
	v_add_u32_e32 v6, 0x4f, v72
	v_lshlrev_b64 v[0:1], 3, v[16:17]
	v_mad_u64_u32 v[4:5], s[0:1], s12, v6, 0
	v_add_co_u32_e32 v0, vcc, v40, v0
	v_addc_co_u32_e32 v1, vcc, v41, v1, vcc
	global_store_dwordx2 v[0:1], v[8:9], off
	v_lshlrev_b64 v[0:1], 3, v[2:3]
	v_mov_b32_e32 v2, v5
	v_mad_u64_u32 v[2:3], s[0:1], s13, v6, v[2:3]
	v_add_co_u32_e32 v0, vcc, v40, v0
	v_addc_co_u32_e32 v1, vcc, v41, v1, vcc
	v_mov_b32_e32 v5, v2
	global_store_dwordx2 v[0:1], v[10:11], off
	v_lshlrev_b64 v[0:1], 3, v[4:5]
	v_add_co_u32_e32 v0, vcc, v40, v0
	v_addc_co_u32_e32 v1, vcc, v41, v1, vcc
	global_store_dwordx2 v[0:1], v[14:15], off
	s_endpgm
	.section	.rodata,"a",@progbits
	.p2align	6, 0x0
	.amdhsa_kernel fft_rtc_fwd_len84_factors_6_2_7_wgs_252_tpt_7_halfLds_dim2_sp_ip_CI_sbcc_twdbase8_3step_dirReg
		.amdhsa_group_segment_fixed_size 0
		.amdhsa_private_segment_fixed_size 0
		.amdhsa_kernarg_size 88
		.amdhsa_user_sgpr_count 6
		.amdhsa_user_sgpr_private_segment_buffer 1
		.amdhsa_user_sgpr_dispatch_ptr 0
		.amdhsa_user_sgpr_queue_ptr 0
		.amdhsa_user_sgpr_kernarg_segment_ptr 1
		.amdhsa_user_sgpr_dispatch_id 0
		.amdhsa_user_sgpr_flat_scratch_init 0
		.amdhsa_user_sgpr_private_segment_size 0
		.amdhsa_uses_dynamic_stack 0
		.amdhsa_system_sgpr_private_segment_wavefront_offset 0
		.amdhsa_system_sgpr_workgroup_id_x 1
		.amdhsa_system_sgpr_workgroup_id_y 0
		.amdhsa_system_sgpr_workgroup_id_z 0
		.amdhsa_system_sgpr_workgroup_info 0
		.amdhsa_system_vgpr_workitem_id 0
		.amdhsa_next_free_vgpr 105
		.amdhsa_next_free_sgpr 24
		.amdhsa_reserve_vcc 1
		.amdhsa_reserve_flat_scratch 0
		.amdhsa_float_round_mode_32 0
		.amdhsa_float_round_mode_16_64 0
		.amdhsa_float_denorm_mode_32 3
		.amdhsa_float_denorm_mode_16_64 3
		.amdhsa_dx10_clamp 1
		.amdhsa_ieee_mode 1
		.amdhsa_fp16_overflow 0
		.amdhsa_exception_fp_ieee_invalid_op 0
		.amdhsa_exception_fp_denorm_src 0
		.amdhsa_exception_fp_ieee_div_zero 0
		.amdhsa_exception_fp_ieee_overflow 0
		.amdhsa_exception_fp_ieee_underflow 0
		.amdhsa_exception_fp_ieee_inexact 0
		.amdhsa_exception_int_div_zero 0
	.end_amdhsa_kernel
	.text
.Lfunc_end0:
	.size	fft_rtc_fwd_len84_factors_6_2_7_wgs_252_tpt_7_halfLds_dim2_sp_ip_CI_sbcc_twdbase8_3step_dirReg, .Lfunc_end0-fft_rtc_fwd_len84_factors_6_2_7_wgs_252_tpt_7_halfLds_dim2_sp_ip_CI_sbcc_twdbase8_3step_dirReg
                                        ; -- End function
	.section	.AMDGPU.csdata,"",@progbits
; Kernel info:
; codeLenInByte = 8412
; NumSgprs: 28
; NumVgprs: 105
; ScratchSize: 0
; MemoryBound: 0
; FloatMode: 240
; IeeeMode: 1
; LDSByteSize: 0 bytes/workgroup (compile time only)
; SGPRBlocks: 3
; VGPRBlocks: 26
; NumSGPRsForWavesPerEU: 28
; NumVGPRsForWavesPerEU: 105
; Occupancy: 2
; WaveLimiterHint : 1
; COMPUTE_PGM_RSRC2:SCRATCH_EN: 0
; COMPUTE_PGM_RSRC2:USER_SGPR: 6
; COMPUTE_PGM_RSRC2:TRAP_HANDLER: 0
; COMPUTE_PGM_RSRC2:TGID_X_EN: 1
; COMPUTE_PGM_RSRC2:TGID_Y_EN: 0
; COMPUTE_PGM_RSRC2:TGID_Z_EN: 0
; COMPUTE_PGM_RSRC2:TIDIG_COMP_CNT: 0
	.type	__hip_cuid_96238c560a22e736,@object ; @__hip_cuid_96238c560a22e736
	.section	.bss,"aw",@nobits
	.globl	__hip_cuid_96238c560a22e736
__hip_cuid_96238c560a22e736:
	.byte	0                               ; 0x0
	.size	__hip_cuid_96238c560a22e736, 1

	.ident	"AMD clang version 19.0.0git (https://github.com/RadeonOpenCompute/llvm-project roc-6.4.0 25133 c7fe45cf4b819c5991fe208aaa96edf142730f1d)"
	.section	".note.GNU-stack","",@progbits
	.addrsig
	.addrsig_sym __hip_cuid_96238c560a22e736
	.amdgpu_metadata
---
amdhsa.kernels:
  - .args:
      - .actual_access:  read_only
        .address_space:  global
        .offset:         0
        .size:           8
        .value_kind:     global_buffer
      - .address_space:  global
        .offset:         8
        .size:           8
        .value_kind:     global_buffer
      - .actual_access:  read_only
        .address_space:  global
        .offset:         16
        .size:           8
        .value_kind:     global_buffer
      - .actual_access:  read_only
        .address_space:  global
        .offset:         24
        .size:           8
        .value_kind:     global_buffer
      - .offset:         32
        .size:           8
        .value_kind:     by_value
      - .actual_access:  read_only
        .address_space:  global
        .offset:         40
        .size:           8
        .value_kind:     global_buffer
      - .actual_access:  read_only
        .address_space:  global
        .offset:         48
        .size:           8
        .value_kind:     global_buffer
      - .offset:         56
        .size:           4
        .value_kind:     by_value
      - .actual_access:  read_only
        .address_space:  global
        .offset:         64
        .size:           8
        .value_kind:     global_buffer
      - .actual_access:  read_only
        .address_space:  global
        .offset:         72
        .size:           8
        .value_kind:     global_buffer
      - .address_space:  global
        .offset:         80
        .size:           8
        .value_kind:     global_buffer
    .group_segment_fixed_size: 0
    .kernarg_segment_align: 8
    .kernarg_segment_size: 88
    .language:       OpenCL C
    .language_version:
      - 2
      - 0
    .max_flat_workgroup_size: 252
    .name:           fft_rtc_fwd_len84_factors_6_2_7_wgs_252_tpt_7_halfLds_dim2_sp_ip_CI_sbcc_twdbase8_3step_dirReg
    .private_segment_fixed_size: 0
    .sgpr_count:     28
    .sgpr_spill_count: 0
    .symbol:         fft_rtc_fwd_len84_factors_6_2_7_wgs_252_tpt_7_halfLds_dim2_sp_ip_CI_sbcc_twdbase8_3step_dirReg.kd
    .uniform_work_group_size: 1
    .uses_dynamic_stack: false
    .vgpr_count:     105
    .vgpr_spill_count: 0
    .wavefront_size: 64
amdhsa.target:   amdgcn-amd-amdhsa--gfx906
amdhsa.version:
  - 1
  - 2
...

	.end_amdgpu_metadata
